;; amdgpu-corpus repo=linkedin/Liger-Kernel kind=triton arch=gfx950 opt=O3 lang=triton
	.amdgcn_target "amdgcn-amd-amdhsa--gfx950"
	.amdhsa_code_object_version 5
	.text
	.globl	_jsd_kernel                     ; -- Begin function _jsd_kernel
	.p2align	8
	.type	_jsd_kernel,@function
_jsd_kernel:                            ; @_jsd_kernel
.Lfunc_begin0:
	.cfi_sections .debug_frame
	.cfi_startproc
; %bb.15:
	.file	1 "/root/src/amdgpu-assembly/repos/linkedin__Liger-Kernel/triton_aot_kernels" "jsd_aot.py"
	.loc	1 8 0 prologue_end              ; jsd_aot.py:8:0
	s_load_dwordx2 s[2:3], s[0:1], 0x0
	s_load_dwordx8 s[4:11], s[0:1], 0x8
	s_load_dwordx4 s[12:15], s[0:1], 0x28
	s_waitcnt lgkmcnt(0)
	s_branch .LBB0_0
	.loc	1 0 0 is_stmt 0                 ; :0:0
.Ltmp0:
	.p2align	8
; %bb.16:
.LBB0_0:
	s_load_dword s5, s[0:1], 0x38
	s_load_dword s9, s[0:1], 0x48
.Ltmp1:
	.loc	1 30 19 is_stmt 1               ; jsd_aot.py:30:19
	s_mul_hi_i32 s1, s4, s16
	s_mul_i32 s0, s4, s16
	.loc	1 30 13 is_stmt 0               ; jsd_aot.py:30:13
	s_lshl_b64 s[0:1], s[0:1], 2
	s_add_u32 s20, s2, s0
	.loc	1 84 22 is_stmt 1               ; jsd_aot.py:84:22
	s_waitcnt lgkmcnt(0)
	v_cvt_f32_i32_e32 v1, s9
	.loc	1 30 13                         ; jsd_aot.py:30:13
	s_addc_u32 s4, s3, s1
	.loc	1 31 20                         ; jsd_aot.py:31:20
	s_mul_hi_i32 s1, s5, s16
	s_mul_i32 s0, s5, s16
	.loc	1 84 22                         ; jsd_aot.py:84:22
	v_div_scale_f32 v2, s[2:3], v1, v1, 1.0
	v_rcp_f32_e32 v3, v2
	.loc	1 31 14                         ; jsd_aot.py:31:14
	s_lshl_b64 s[0:1], s[0:1], 2
	s_add_u32 s24, s14, s0
	s_addc_u32 s5, s15, s1
	.loc	1 84 22                         ; jsd_aot.py:84:22
	v_fma_f32 v5, -v2, v3, 1.0
	.loc	1 32 19                         ; jsd_aot.py:32:19
	s_mul_hi_i32 s1, s8, s16
	s_mul_i32 s0, s8, s16
	.loc	1 84 22                         ; jsd_aot.py:84:22
	v_fmac_f32_e32 v3, v5, v3
	v_div_scale_f32 v5, vcc, 1.0, v1, 1.0
	.loc	1 32 13                         ; jsd_aot.py:32:13
	s_lshl_b64 s[0:1], s[0:1], 2
	.loc	1 84 22                         ; jsd_aot.py:84:22
	v_mul_f32_e32 v6, v5, v3
	.loc	1 32 13                         ; jsd_aot.py:32:13
	s_add_u32 s8, s6, s0
	.loc	1 84 22                         ; jsd_aot.py:84:22
	v_fma_f32 v7, -v2, v6, v5
	.loc	1 32 13                         ; jsd_aot.py:32:13
	s_addc_u32 s6, s7, s1
	.loc	1 33 22                         ; jsd_aot.py:33:22
	s_mul_hi_i32 s1, s12, s16
	s_mul_i32 s0, s12, s16
	.loc	1 84 22                         ; jsd_aot.py:84:22
	v_fmac_f32_e32 v6, v7, v3
	.loc	1 33 16                         ; jsd_aot.py:33:16
	s_lshl_b64 s[0:1], s[0:1], 2
	.loc	1 84 22                         ; jsd_aot.py:84:22
	v_fma_f32 v2, -v2, v6, v5
	.loc	1 33 16                         ; jsd_aot.py:33:16
	s_add_u32 s12, s10, s0
	.loc	1 84 22                         ; jsd_aot.py:84:22
	v_div_fmas_f32 v2, v2, v3, v6
.Ltmp2:
	.file	2 "/root/.local/lib/python3.13/site-packages/triton/language" "standard.py"
	.loc	2 191 40                        ; standard.py:191:40 @[ jsd_aot.py:63:59 ]
	v_readfirstlane_b32 s13, v0
.Ltmp3:
	.loc	1 33 16                         ; jsd_aot.py:33:16
	s_addc_u32 s7, s11, s1
	.loc	1 45 35                         ; jsd_aot.py:45:35
	v_and_b32_e32 v4, 63, v0
	.loc	1 84 22                         ; jsd_aot.py:84:22
	v_div_fixup_f32 v1, v2, v1, 1.0
	v_cmp_gt_u32_e64 s[0:1], 8, v0
	v_lshl_add_u32 v2, v0, 2, 0
	v_and_b32_e32 v0, 7, v0
	s_and_b32 s21, s4, 0xffff
	s_bfe_u32 s4, s13, 0x30006
	v_cmp_eq_u32_e64 s[2:3], 0, v0
	.loc	1 44 30                         ; jsd_aot.py:44:30
	v_lshlrev_b32_e32 v0, 2, v4
	.loc	1 45 35                         ; jsd_aot.py:45:35
	s_and_b32 s10, s13, 0x1c0
	s_mov_b32 s15, 0x27000
	s_mov_b32 s14, 0x7ffffffe
	.loc	1 44 30                         ; jsd_aot.py:44:30
	v_lshl_or_b32 v0, s4, 8, v0
	s_and_b32 s9, s6, 0xffff
	v_cmp_eq_u32_e32 vcc, 0, v4
	s_lshl2_add_u32 s18, s4, 0
	s_and_b64 s[16:17], s[0:1], s[2:3]
	s_and_b32 s13, s7, 0xffff
	s_and_b32 s25, s5, 0xffff
	v_or_b32_e32 v0, 0x2800, v0
	v_or_b32_e32 v3, s10, v4
	s_movk_i32 s19, 0xf000
	s_movk_i32 s28, 0x7d00
	v_bfrev_b32_e32 v4, 1
	v_mov_b32_e32 v5, 0xff800000
	s_mov_b32 s29, 0xc2fc0000
	s_mov_b32 s30, 0x800000
	s_mov_b32 s31, 0x3f317217
	s_mov_b32 s33, 0x7f800000
	s_mov_b32 s22, s14
	s_mov_b32 s23, s15
	s_mov_b32 s10, s14
	s_mov_b32 s11, s15
	v_mov_b32_e32 v6, 0
	v_mov_b32_e32 v7, 0x42800000
	v_not_b32_e32 v8, 63
	v_mov_b32_e32 v9, 0x41b17218
	s_branch .LBB0_2
.LBB0_1:                                ;   in Loop: Header=BB0_2 Depth=1
	.loc	1 0 30 is_stmt 0                ; jsd_aot.py:0:30
	s_or_b64 exec, exec, s[2:3]
.Ltmp4:
	.loc	2 191 40 is_stmt 1              ; standard.py:191:40 @[ jsd_aot.py:63:59 ]
	s_waitcnt lgkmcnt(0)
	s_barrier
	ds_read_b32 v34, v6
.Ltmp5:
	.loc	1 63 52                         ; jsd_aot.py:63:52
	v_max_f32_e32 v33, v33, v33
	.loc	1 89 35                         ; jsd_aot.py:89:35
	s_mov_b32 s26, s14
	s_mov_b32 s27, s15
	.loc	1 63 52                         ; jsd_aot.py:63:52
	s_waitcnt lgkmcnt(0)
	v_max_f32_e32 v34, v34, v34
	v_max_f32_e32 v33, v33, v34
	.loc	1 68 29                         ; jsd_aot.py:68:29
	v_mul_f32_e32 v49, 0x3fb8aa3b, v33
	v_cmp_gt_f32_e64 s[2:3], s29, v49
	.loc	1 64 28                         ; jsd_aot.py:64:28
	v_sub_f32_e32 v34, v18, v33
	.loc	1 71 23                         ; jsd_aot.py:71:23
	v_mul_f32_e32 v50, 0x3fb8aa3b, v34
	.loc	1 68 29                         ; jsd_aot.py:68:29
	v_cndmask_b32_e64 v49, 0, v7, s[2:3]
	v_fmac_f32_e32 v49, 0x3fb8aa3b, v33
	v_exp_f32_e32 v49, v49
	s_and_b64 s[2:3], s[2:3], exec
	s_cselect_b32 s2, 0xffffffc0, 0
	.loc	1 64 28                         ; jsd_aot.py:64:28
	v_sub_f32_e32 v35, v19, v33
	.loc	1 68 29                         ; jsd_aot.py:68:29
	v_ldexp_f32 v49, v49, s2
	.loc	1 71 23                         ; jsd_aot.py:71:23
	v_cmp_gt_f32_e64 s[2:3], s29, v50
	.loc	1 64 28                         ; jsd_aot.py:64:28
	v_sub_f32_e32 v36, v20, v33
	v_sub_f32_e32 v37, v21, v33
	.loc	1 71 23                         ; jsd_aot.py:71:23
	v_cndmask_b32_e64 v50, 0, v7, s[2:3]
	v_fmac_f32_e32 v50, 0x3fb8aa3b, v34
	v_exp_f32_e32 v34, v50
	v_mul_f32_e32 v50, 0x3fb8aa3b, v35
	v_cmp_gt_f32_e64 s[4:5], s29, v50
	.loc	1 64 28                         ; jsd_aot.py:64:28
	v_sub_f32_e32 v38, v22, v33
	v_sub_f32_e32 v39, v17, v33
	.loc	1 71 23                         ; jsd_aot.py:71:23
	v_cndmask_b32_e64 v50, 0, v7, s[4:5]
	v_fmac_f32_e32 v50, 0x3fb8aa3b, v35
	v_exp_f32_e32 v35, v50
	v_cndmask_b32_e64 v50, 0, v8, s[2:3]
	v_ldexp_f32 v34, v34, v50
	v_cndmask_b32_e64 v50, 0, v8, s[4:5]
	v_ldexp_f32 v35, v35, v50
	v_mul_f32_e32 v50, 0x3fb8aa3b, v36
	v_cmp_gt_f32_e64 s[2:3], s29, v50
	.loc	1 64 28                         ; jsd_aot.py:64:28
	v_sub_f32_e32 v40, v23, v33
	v_sub_f32_e32 v41, v24, v33
	.loc	1 71 23                         ; jsd_aot.py:71:23
	v_cndmask_b32_e64 v50, 0, v7, s[2:3]
	v_fmac_f32_e32 v50, 0x3fb8aa3b, v36
	v_exp_f32_e32 v36, v50
	v_mul_f32_e32 v50, 0x3fb8aa3b, v37
	v_cmp_gt_f32_e64 s[4:5], s29, v50
	.loc	1 65 28                         ; jsd_aot.py:65:28
	v_sub_f32_e32 v42, v32, v33
	v_sub_f32_e32 v43, v31, v33
	.loc	1 71 23                         ; jsd_aot.py:71:23
	v_cndmask_b32_e64 v50, 0, v7, s[4:5]
	v_fmac_f32_e32 v50, 0x3fb8aa3b, v37
	v_exp_f32_e32 v37, v50
	v_cndmask_b32_e64 v50, 0, v8, s[2:3]
	v_ldexp_f32 v36, v36, v50
	v_cndmask_b32_e64 v50, 0, v8, s[4:5]
	v_ldexp_f32 v37, v37, v50
	v_mul_f32_e32 v50, 0x3fb8aa3b, v38
	v_cmp_gt_f32_e64 s[2:3], s29, v50
	.loc	1 71 36 is_stmt 0               ; jsd_aot.py:71:36
	v_mul_f32_e32 v51, v49, v36
	.loc	1 72 23 is_stmt 1               ; jsd_aot.py:72:23
	v_mul_f32_e32 v36, 0x3fb8aa3b, v43
	.loc	1 71 23                         ; jsd_aot.py:71:23
	v_cndmask_b32_e64 v50, 0, v7, s[2:3]
	v_fmac_f32_e32 v50, 0x3fb8aa3b, v38
	v_exp_f32_e32 v38, v50
	v_mul_f32_e32 v50, 0x3fb8aa3b, v39
	v_cmp_gt_f32_e64 s[4:5], s29, v50
	.loc	1 71 36 is_stmt 0               ; jsd_aot.py:71:36
	v_mul_f32_e32 v52, v49, v37
	.loc	1 65 28 is_stmt 1               ; jsd_aot.py:65:28
	v_sub_f32_e32 v44, v30, v33
	.loc	1 71 23                         ; jsd_aot.py:71:23
	v_cndmask_b32_e64 v50, 0, v7, s[4:5]
	v_fmac_f32_e32 v50, 0x3fb8aa3b, v39
	v_exp_f32_e32 v39, v50
	v_cndmask_b32_e64 v50, 0, v8, s[2:3]
	v_ldexp_f32 v38, v38, v50
	v_cndmask_b32_e64 v50, 0, v8, s[4:5]
	v_ldexp_f32 v39, v39, v50
	v_mul_f32_e32 v50, 0x3fb8aa3b, v40
	v_cmp_gt_f32_e64 s[2:3], s29, v50
	.loc	1 65 28                         ; jsd_aot.py:65:28
	v_sub_f32_e32 v45, v28, v33
	.loc	1 71 36                         ; jsd_aot.py:71:36
	v_mul_f32_e32 v53, v49, v38
	.loc	1 71 23 is_stmt 0               ; jsd_aot.py:71:23
	v_cndmask_b32_e64 v50, 0, v7, s[2:3]
	v_fmac_f32_e32 v50, 0x3fb8aa3b, v40
	v_exp_f32_e32 v40, v50
	v_mul_f32_e32 v50, 0x3fb8aa3b, v41
	v_cmp_gt_f32_e64 s[4:5], s29, v50
	.loc	1 72 23 is_stmt 1               ; jsd_aot.py:72:23
	v_mul_f32_e32 v38, 0x3fb8aa3b, v45
	.loc	1 71 36                         ; jsd_aot.py:71:36
	v_mul_f32_e32 v54, v49, v39
	.loc	1 71 23 is_stmt 0               ; jsd_aot.py:71:23
	v_cndmask_b32_e64 v50, 0, v7, s[4:5]
	v_fmac_f32_e32 v50, 0x3fb8aa3b, v41
	v_exp_f32_e32 v41, v50
	v_cndmask_b32_e64 v50, 0, v8, s[2:3]
	v_ldexp_f32 v40, v40, v50
	v_cndmask_b32_e64 v50, 0, v8, s[4:5]
	v_ldexp_f32 v41, v41, v50
	.loc	1 71 36                         ; jsd_aot.py:71:36
	v_mul_f32_e32 v50, v49, v35
	.loc	1 72 23 is_stmt 1               ; jsd_aot.py:72:23
	v_mul_f32_e32 v35, 0x3fb8aa3b, v42
	v_cmp_gt_f32_e64 s[2:3], s29, v35
	v_cmp_gt_f32_e64 s[4:5], s29, v36
	.loc	1 65 28                         ; jsd_aot.py:65:28
	v_sub_f32_e32 v46, v26, v33
	.loc	1 72 23                         ; jsd_aot.py:72:23
	v_cndmask_b32_e64 v35, 0, v7, s[2:3]
	v_fmac_f32_e32 v35, 0x3fb8aa3b, v42
	v_cndmask_b32_e64 v36, 0, v7, s[4:5]
	v_exp_f32_e32 v35, v35
	v_fmac_f32_e32 v36, 0x3fb8aa3b, v43
	v_exp_f32_e32 v36, v36
	v_cndmask_b32_e64 v37, 0, v8, s[2:3]
	v_ldexp_f32 v35, v35, v37
	v_cndmask_b32_e64 v37, 0, v8, s[4:5]
	v_ldexp_f32 v36, v36, v37
	v_mul_f32_e32 v37, 0x3fb8aa3b, v44
	v_cmp_gt_f32_e64 s[2:3], s29, v37
	v_cmp_gt_f32_e64 s[4:5], s29, v38
	.loc	1 65 28                         ; jsd_aot.py:65:28
	v_sub_f32_e32 v47, v25, v33
	.loc	1 72 23                         ; jsd_aot.py:72:23
	v_cndmask_b32_e64 v37, 0, v7, s[2:3]
	v_fmac_f32_e32 v37, 0x3fb8aa3b, v44
	v_cndmask_b32_e64 v38, 0, v7, s[4:5]
	v_exp_f32_e32 v37, v37
	v_fmac_f32_e32 v38, 0x3fb8aa3b, v45
	v_exp_f32_e32 v38, v38
	v_cndmask_b32_e64 v39, 0, v8, s[2:3]
	v_ldexp_f32 v37, v37, v39
	v_cndmask_b32_e64 v39, 0, v8, s[4:5]
	v_ldexp_f32 v38, v38, v39
	v_mul_f32_e32 v39, 0x3fb8aa3b, v46
	.loc	1 71 36                         ; jsd_aot.py:71:36
	v_mul_f32_e32 v56, v49, v40
	.loc	1 72 23                         ; jsd_aot.py:72:23
	v_cmp_gt_f32_e64 s[2:3], s29, v39
	v_mul_f32_e32 v40, 0x3fb8aa3b, v47
	v_cmp_gt_f32_e64 s[4:5], s29, v40
	v_cndmask_b32_e64 v39, 0, v7, s[2:3]
	v_fmac_f32_e32 v39, 0x3fb8aa3b, v46
	v_cndmask_b32_e64 v40, 0, v7, s[4:5]
	v_exp_f32_e32 v39, v39
	v_fmac_f32_e32 v40, 0x3fb8aa3b, v47
	v_exp_f32_e32 v40, v40
	.loc	1 71 36                         ; jsd_aot.py:71:36
	v_mul_f32_e32 v58, v49, v41
	.loc	1 72 23                         ; jsd_aot.py:72:23
	v_cndmask_b32_e64 v41, 0, v8, s[2:3]
	.loc	1 65 28                         ; jsd_aot.py:65:28
	v_sub_f32_e32 v48, v29, v33
	.loc	1 72 23                         ; jsd_aot.py:72:23
	v_ldexp_f32 v39, v39, v41
	v_cndmask_b32_e64 v41, 0, v8, s[4:5]
	.loc	1 65 28                         ; jsd_aot.py:65:28
	v_sub_f32_e32 v33, v27, v33
	.loc	1 72 23                         ; jsd_aot.py:72:23
	v_ldexp_f32 v40, v40, v41
	v_mul_f32_e32 v41, 0x3fb8aa3b, v48
	v_cmp_gt_f32_e64 s[2:3], s29, v41
	v_mul_f32_e32 v42, 0x3fb8aa3b, v33
	v_cmp_gt_f32_e64 s[4:5], s29, v42
	v_cndmask_b32_e64 v41, 0, v7, s[2:3]
	v_fmac_f32_e32 v41, 0x3fb8aa3b, v48
	v_cndmask_b32_e64 v42, 0, v7, s[4:5]
	v_exp_f32_e32 v41, v41
	v_fmac_f32_e32 v42, 0x3fb8aa3b, v33
	v_exp_f32_e32 v33, v42
	v_cndmask_b32_e64 v42, 0, v8, s[2:3]
	v_ldexp_f32 v41, v41, v42
	v_cndmask_b32_e64 v42, 0, v8, s[4:5]
	.loc	1 71 36                         ; jsd_aot.py:71:36
	v_mul_f32_e32 v34, v49, v34
	.loc	1 72 23                         ; jsd_aot.py:72:23
	v_ldexp_f32 v42, v33, v42
	.loc	1 72 36 is_stmt 0               ; jsd_aot.py:72:36
	v_mul_f32_e32 v33, v49, v35
	.loc	1 75 28 is_stmt 1               ; jsd_aot.py:75:28
	v_mul_f32_e32 v33, 0.5, v33
	.loc	1 76 44                         ; jsd_aot.py:76:44
	v_mul_f32_e32 v35, 0.5, v34
	.loc	1 80 28                         ; jsd_aot.py:80:28
	v_mul_f32_e32 v32, v32, v33
	.loc	1 80 51 is_stmt 0               ; jsd_aot.py:80:51
	v_mul_f32_e32 v34, v18, v35
	.loc	1 80 32                         ; jsd_aot.py:80:32
	v_pk_add_f32 v[32:33], v[32:33], v[34:35]
	.loc	1 72 36 is_stmt 1               ; jsd_aot.py:72:36
	v_mul_f32_e32 v36, v49, v36
	.loc	1 78 27                         ; jsd_aot.py:78:27
	v_cmp_gt_f32_e64 s[2:3], s30, v33
	.loc	1 72 36                         ; jsd_aot.py:72:36
	v_mul_f32_e32 v43, v49, v37
	v_mul_f32_e32 v46, v49, v39
	.loc	1 78 27                         ; jsd_aot.py:78:27
	v_cndmask_b32_e64 v34, 0, 32, s[2:3]
	v_ldexp_f32 v34, v33, v34
	v_log_f32_e32 v34, v34
	.loc	1 72 36                         ; jsd_aot.py:72:36
	v_mul_f32_e32 v55, v49, v40
	.loc	1 76 44                         ; jsd_aot.py:76:44
	v_mul_f32_e32 v39, 0.5, v50
	.loc	1 72 36                         ; jsd_aot.py:72:36
	v_mul_f32_e32 v44, v49, v38
	.loc	1 78 27                         ; jsd_aot.py:78:27
	v_mul_f32_e32 v37, 0x3f317217, v34
	v_fma_f32 v40, v34, s31, -v37
	.loc	1 75 28                         ; jsd_aot.py:75:28
	v_mul_f32_e32 v37, 0.5, v36
	.loc	1 80 28                         ; jsd_aot.py:80:28
	v_mul_f32_e32 v36, v31, v37
	.loc	1 80 51 is_stmt 0               ; jsd_aot.py:80:51
	v_mul_f32_e32 v38, v19, v39
	.loc	1 80 32                         ; jsd_aot.py:80:32
	v_pk_add_f32 v[36:37], v[36:37], v[38:39]
	.loc	1 78 27 is_stmt 1               ; jsd_aot.py:78:27
	v_fmac_f32_e32 v40, 0x3377d1cf, v34
	v_cmp_gt_f32_e64 s[4:5], s30, v37
	v_fmac_f32_e32 v40, 0x3f317217, v34
	v_cmp_lt_f32_e64 s[6:7], |v34|, s33
	v_cndmask_b32_e64 v31, 0, 32, s[4:5]
	v_ldexp_f32 v31, v37, v31
	v_log_f32_e32 v38, v31
	v_cndmask_b32_e64 v31, v34, v40, s[6:7]
	v_cndmask_b32_e64 v34, 0, v9, s[2:3]
	v_sub_f32_e32 v34, v31, v34
	v_mul_f32_e32 v31, 0x3f317217, v38
	.loc	1 72 36                         ; jsd_aot.py:72:36
	v_mul_f32_e32 v57, v49, v41
	v_mul_f32_e32 v59, v49, v42
	.loc	1 78 27                         ; jsd_aot.py:78:27
	v_fma_f32 v42, v38, s31, -v31
	.loc	1 75 28                         ; jsd_aot.py:75:28
	v_mul_f32_e32 v31, 0.5, v43
	.loc	1 76 44                         ; jsd_aot.py:76:44
	v_mul_f32_e32 v41, 0.5, v51
	.loc	1 80 28                         ; jsd_aot.py:80:28
	v_mul_f32_e32 v30, v30, v31
	.loc	1 80 51 is_stmt 0               ; jsd_aot.py:80:51
	v_mul_f32_e32 v40, v20, v41
	.loc	1 80 32                         ; jsd_aot.py:80:32
	v_pk_add_f32 v[30:31], v[30:31], v[40:41]
	.loc	1 78 27 is_stmt 1               ; jsd_aot.py:78:27
	v_fmac_f32_e32 v42, 0x3377d1cf, v38
	v_cmp_gt_f32_e64 s[2:3], s30, v31
	v_fmac_f32_e32 v42, 0x3f317217, v38
	v_cmp_lt_f32_e64 s[6:7], |v38|, s33
	v_cndmask_b32_e64 v40, 0, 32, s[2:3]
	v_ldexp_f32 v40, v31, v40
	v_log_f32_e32 v40, v40
	v_cndmask_b32_e64 v38, v38, v42, s[6:7]
	v_cndmask_b32_e64 v42, 0, v9, s[4:5]
	v_sub_f32_e32 v38, v38, v42
	v_mul_f32_e32 v42, 0x3f317217, v40
	.loc	1 75 28                         ; jsd_aot.py:75:28
	v_mul_f32_e32 v43, 0.5, v44
	.loc	1 76 44                         ; jsd_aot.py:76:44
	v_mul_f32_e32 v45, 0.5, v52
	.loc	1 78 27                         ; jsd_aot.py:78:27
	v_fma_f32 v47, v40, s31, -v42
	.loc	1 80 28                         ; jsd_aot.py:80:28
	v_mul_f32_e32 v42, v28, v43
	.loc	1 80 51 is_stmt 0               ; jsd_aot.py:80:51
	v_mul_f32_e32 v44, v21, v45
	.loc	1 80 32                         ; jsd_aot.py:80:32
	v_pk_add_f32 v[42:43], v[42:43], v[44:45]
	.loc	1 78 27 is_stmt 1               ; jsd_aot.py:78:27
	v_fmac_f32_e32 v47, 0x3377d1cf, v40
	v_cmp_gt_f32_e64 s[4:5], s30, v43
	v_fmac_f32_e32 v47, 0x3f317217, v40
	v_cmp_lt_f32_e64 s[6:7], |v40|, s33
	v_cndmask_b32_e64 v28, 0, 32, s[4:5]
	v_ldexp_f32 v28, v43, v28
	v_cndmask_b32_e64 v40, v40, v47, s[6:7]
	.loc	1 75 28                         ; jsd_aot.py:75:28
	v_mul_f32_e32 v47, 0.5, v46
	.loc	1 76 44                         ; jsd_aot.py:76:44
	v_mul_f32_e32 v49, 0.5, v53
	.loc	1 78 27                         ; jsd_aot.py:78:27
	v_log_f32_e32 v28, v28
	.loc	1 80 28                         ; jsd_aot.py:80:28
	v_mul_f32_e32 v46, v26, v47
	.loc	1 80 51 is_stmt 0               ; jsd_aot.py:80:51
	v_mul_f32_e32 v48, v22, v49
	.loc	1 80 32                         ; jsd_aot.py:80:32
	v_pk_add_f32 v[46:47], v[46:47], v[48:49]
	.loc	1 78 27 is_stmt 1               ; jsd_aot.py:78:27
	v_cndmask_b32_e64 v44, 0, v9, s[2:3]
	v_cmp_gt_f32_e64 s[2:3], s30, v47
	v_sub_f32_e32 v40, v40, v44
	v_mul_f32_e32 v44, 0x3f317217, v28
	v_cndmask_b32_e64 v26, 0, 32, s[2:3]
	v_ldexp_f32 v26, v47, v26
	v_fma_f32 v44, v28, s31, -v44
	v_log_f32_e32 v26, v26
	v_fmac_f32_e32 v44, 0x3377d1cf, v28
	v_fmac_f32_e32 v44, 0x3f317217, v28
	v_cmp_lt_f32_e64 s[6:7], |v28|, s33
	.loc	1 75 28                         ; jsd_aot.py:75:28
	v_mul_f32_e32 v51, 0.5, v55
	.loc	1 76 44                         ; jsd_aot.py:76:44
	v_mul_f32_e32 v53, 0.5, v54
	.loc	1 78 27                         ; jsd_aot.py:78:27
	v_cndmask_b32_e64 v28, v28, v44, s[6:7]
	v_cndmask_b32_e64 v44, 0, v9, s[4:5]
	.loc	1 80 28                         ; jsd_aot.py:80:28
	v_mul_f32_e32 v50, v25, v51
	.loc	1 80 51 is_stmt 0               ; jsd_aot.py:80:51
	v_mul_f32_e32 v52, v17, v53
	.loc	1 78 27 is_stmt 1               ; jsd_aot.py:78:27
	v_sub_f32_e32 v44, v28, v44
	v_mul_f32_e32 v28, 0x3f317217, v26
	.loc	1 80 32                         ; jsd_aot.py:80:32
	v_pk_add_f32 v[50:51], v[50:51], v[52:53]
	.loc	1 78 27                         ; jsd_aot.py:78:27
	v_fma_f32 v28, v26, s31, -v28
	v_cmp_gt_f32_e64 s[4:5], s30, v51
	v_fmac_f32_e32 v28, 0x3377d1cf, v26
	v_fmac_f32_e32 v28, 0x3f317217, v26
	v_cndmask_b32_e64 v25, 0, 32, s[4:5]
	v_ldexp_f32 v25, v51, v25
	v_cmp_lt_f32_e64 s[6:7], |v26|, s33
	.loc	1 75 28                         ; jsd_aot.py:75:28
	v_mul_f32_e32 v55, 0.5, v57
	.loc	1 76 44                         ; jsd_aot.py:76:44
	v_mul_f32_e32 v57, 0.5, v56
	.loc	1 78 27                         ; jsd_aot.py:78:27
	v_log_f32_e32 v25, v25
	v_cndmask_b32_e64 v26, v26, v28, s[6:7]
	v_cndmask_b32_e64 v28, 0, v9, s[2:3]
	.loc	1 80 28                         ; jsd_aot.py:80:28
	v_mul_f32_e32 v54, v29, v55
	.loc	1 80 51 is_stmt 0               ; jsd_aot.py:80:51
	v_mul_f32_e32 v56, v23, v57
	.loc	1 78 27 is_stmt 1               ; jsd_aot.py:78:27
	v_sub_f32_e32 v48, v26, v28
	.loc	1 80 32                         ; jsd_aot.py:80:32
	v_pk_add_f32 v[28:29], v[54:55], v[56:57]
	.loc	1 78 27                         ; jsd_aot.py:78:27
	v_mul_f32_e32 v26, 0x3f317217, v25
	v_cmp_gt_f32_e64 s[2:3], s30, v29
	v_fma_f32 v26, v25, s31, -v26
	v_fmac_f32_e32 v26, 0x3377d1cf, v25
	v_cndmask_b32_e64 v52, 0, 32, s[2:3]
	v_ldexp_f32 v52, v29, v52
	v_log_f32_e32 v52, v52
	v_fmac_f32_e32 v26, 0x3f317217, v25
	v_cmp_lt_f32_e64 s[6:7], |v25|, s33
	.loc	1 75 28                         ; jsd_aot.py:75:28
	v_mul_f32_e32 v55, 0.5, v59
	.loc	1 80 28                         ; jsd_aot.py:80:28
	v_mul_f32_e32 v54, v27, v55
	.loc	1 78 27                         ; jsd_aot.py:78:27
	v_cndmask_b32_e64 v25, v25, v26, s[6:7]
	v_cndmask_b32_e64 v26, 0, v9, s[4:5]
	v_sub_f32_e32 v25, v25, v26
	v_mul_f32_e32 v26, 0x3f317217, v52
	v_fma_f32 v26, v52, s31, -v26
	v_fmac_f32_e32 v26, 0x3377d1cf, v52
	v_fmac_f32_e32 v26, 0x3f317217, v52
	v_cmp_lt_f32_e64 s[4:5], |v52|, s33
	.loc	1 76 44                         ; jsd_aot.py:76:44
	v_mul_f32_e32 v27, 0.5, v58
	.loc	1 81 41                         ; jsd_aot.py:81:41
	v_sub_f32_e32 v18, v18, v34
	.loc	1 78 27                         ; jsd_aot.py:78:27
	v_cndmask_b32_e64 v26, v52, v26, s[4:5]
	v_cndmask_b32_e64 v52, 0, v9, s[2:3]
	v_sub_f32_e32 v52, v26, v52
	.loc	1 80 51                         ; jsd_aot.py:80:51
	v_mul_f32_e32 v26, v24, v27
	.loc	1 80 32 is_stmt 0               ; jsd_aot.py:80:32
	v_pk_add_f32 v[54:55], v[54:55], v[26:27]
	.loc	1 80 55                         ; jsd_aot.py:80:55
	v_fma_f32 v32, -v33, v34, v32
	.loc	1 78 27 is_stmt 1               ; jsd_aot.py:78:27
	v_cmp_gt_f32_e64 s[2:3], s30, v55
	.loc	1 81 41                         ; jsd_aot.py:81:41
	v_sub_f32_e32 v19, v19, v38
	v_sub_f32_e32 v20, v20, v40
	.loc	1 78 27                         ; jsd_aot.py:78:27
	v_cndmask_b32_e64 v26, 0, 32, s[2:3]
	v_ldexp_f32 v26, v55, v26
	v_log_f32_e32 v26, v26
	.loc	1 81 41                         ; jsd_aot.py:81:41
	v_sub_f32_e32 v21, v21, v44
	v_sub_f32_e32 v22, v22, v48
	;; [unrolled: 1-line block ×3, first 2 shown]
	.loc	1 78 27                         ; jsd_aot.py:78:27
	v_mul_f32_e32 v56, 0x3f317217, v26
	v_fma_f32 v56, v26, s31, -v56
	v_fmac_f32_e32 v56, 0x3377d1cf, v26
	v_fmac_f32_e32 v56, 0x3f317217, v26
	v_cmp_lt_f32_e64 s[4:5], |v26|, s33
	.loc	1 81 41                         ; jsd_aot.py:81:41
	v_sub_f32_e32 v23, v23, v52
	.loc	1 81 37 is_stmt 0               ; jsd_aot.py:81:37
	v_mul_f32_e32 v18, v35, v18
	.loc	1 78 27 is_stmt 1               ; jsd_aot.py:78:27
	v_cndmask_b32_e64 v26, v26, v56, s[4:5]
	v_cndmask_b32_e64 v56, 0, v9, s[2:3]
	v_sub_f32_e32 v26, v26, v56
	.loc	1 81 41                         ; jsd_aot.py:81:41
	v_sub_f32_e32 v24, v24, v26
	.loc	1 80 55                         ; jsd_aot.py:80:55
	v_fma_f32 v33, -v37, v38, v36
	v_fma_f32 v30, -v31, v40, v30
	;; [unrolled: 1-line block ×7, first 2 shown]
	.loc	1 81 37                         ; jsd_aot.py:81:37
	v_mul_f32_e32 v19, v39, v19
	v_mul_f32_e32 v20, v41, v20
	;; [unrolled: 1-line block ×7, first 2 shown]
	.loc	1 85 22                         ; jsd_aot.py:85:22
	v_mul_f32_e32 v25, v1, v32
	.loc	1 86 18                         ; jsd_aot.py:86:18
	v_mul_f32_e32 v18, v1, v18
	.loc	1 44 30                         ; jsd_aot.py:44:30
	s_addk_i32 s19, 0x1000
	.loc	1 85 22                         ; jsd_aot.py:85:22
	v_mul_f32_e32 v26, v1, v33
	v_mul_f32_e32 v27, v1, v30
	;; [unrolled: 1-line block ×7, first 2 shown]
	.loc	1 86 18                         ; jsd_aot.py:86:18
	v_mul_f32_e32 v19, v1, v19
	v_mul_f32_e32 v20, v1, v20
	;; [unrolled: 1-line block ×7, first 2 shown]
	.loc	1 88 37                         ; jsd_aot.py:88:37
	buffer_store_dword v25, v10, s[12:15], 0 offen
	buffer_store_dword v26, v11, s[12:15], 0 offen
	;; [unrolled: 1-line block ×8, first 2 shown]
	.loc	1 89 35                         ; jsd_aot.py:89:35
	buffer_store_dword v18, v10, s[24:27], 0 offen
	buffer_store_dword v19, v11, s[24:27], 0 offen
	;; [unrolled: 1-line block ×8, first 2 shown]
	.loc	1 44 30                         ; jsd_aot.py:44:30
	s_cmpk_lt_u32 s19, 0x6d00
	v_add_u32_e32 v0, 0x4000, v0
	s_cbranch_scc0 .LBB0_14
.LBB0_2:                                ; =>This Inner Loop Header: Depth=1
	.loc	1 45 22                         ; jsd_aot.py:45:22
	v_add_u32_e32 v10, s19, v3
	v_add_u32_e32 v15, 0x1c00, v10
	.loc	1 46 25                         ; jsd_aot.py:46:25
	v_add_u32_e32 v16, 0x1e00, v10
	.loc	1 47 20                         ; jsd_aot.py:47:20
	;; [unrolled: 2-line block ×3, first 2 shown]
	v_cmp_gt_u32_e64 s[2:3], s28, v15
	.loc	1 47 20                         ; jsd_aot.py:47:20
	v_add_u32_e32 v10, 0xffffd800, v0
	.loc	1 46 25                         ; jsd_aot.py:46:25
	v_cmp_gt_u32_e64 s[4:5], s28, v16
	.loc	1 47 20                         ; jsd_aot.py:47:20
	v_cndmask_b32_e64 v15, v4, v17, s[2:3]
	v_add_u32_e32 v17, 0x1000, v0
	v_add_u32_e32 v11, 0xffffe000, v0
	;; [unrolled: 1-line block ×5, first 2 shown]
	v_cndmask_b32_e64 v16, v4, v17, s[4:5]
	buffer_load_dword v18, v10, s[20:23], 0 offen
	buffer_load_dword v19, v11, s[20:23], 0 offen
	buffer_load_dword v20, v12, s[20:23], 0 offen
	buffer_load_dword v17, v0, s[20:23], 0 offen
	buffer_load_dword v23, v15, s[20:23], 0 offen
	buffer_load_dword v24, v16, s[20:23], 0 offen
	buffer_load_dword v21, v13, s[20:23], 0 offen
	buffer_load_dword v22, v14, s[20:23], 0 offen
	.loc	1 48 20                         ; jsd_aot.py:48:20
	buffer_load_dword v25, v0, s[8:11], 0 offen
	buffer_load_dword v32, v10, s[8:11], 0 offen
	;; [unrolled: 1-line block ×8, first 2 shown]
.Ltmp6:
	.loc	2 191 40                        ; standard.py:191:40 @[ jsd_aot.py:63:40 ]
	s_waitcnt lgkmcnt(0)
	s_barrier
.Ltmp7:
	.loc	2 170 27                        ; standard.py:170:27 @[ standard.py:191:40 @[ jsd_aot.py:63:40 ] ]
	s_waitcnt vmcnt(15)
	v_max_f32_e32 v34, v18, v18
	s_waitcnt vmcnt(14)
	v_max_f32_e32 v29, v19, v19
	v_max_f32_e32 v29, v34, v29
.Ltmp8:
	.loc	1 47 20                         ; jsd_aot.py:47:20
	s_waitcnt vmcnt(11)
	v_cndmask_b32_e64 v23, v5, v23, s[2:3]
	s_waitcnt vmcnt(10)
	v_cndmask_b32_e64 v24, v5, v24, s[4:5]
.Ltmp9:
	.loc	2 170 27                        ; standard.py:170:27 @[ standard.py:191:40 @[ jsd_aot.py:63:40 ] ]
	s_waitcnt vmcnt(9)
	v_max3_f32 v29, v29, v20, v21
	s_waitcnt vmcnt(8)
	v_max3_f32 v29, v29, v22, v17
	v_max3_f32 v29, v29, v23, v24
.Ltmp10:
	.loc	2 191 40                        ; standard.py:191:40 @[ jsd_aot.py:63:40 ]
	s_nop 1
	v_mov_b32_dpp v34, v29 row_shr:8 row_mask:0xf bank_mask:0xf bound_ctrl:1
.Ltmp11:
	.loc	2 170 27                        ; standard.py:170:27 @[ standard.py:191:40 @[ jsd_aot.py:63:40 ] ]
	v_max_f32_e32 v34, v34, v34
	v_max_f32_e32 v29, v29, v34
.Ltmp12:
	.loc	2 191 40                        ; standard.py:191:40 @[ jsd_aot.py:63:40 ]
	s_nop 1
	v_mov_b32_dpp v34, v29 row_shr:4 row_mask:0xf bank_mask:0xf bound_ctrl:1
.Ltmp13:
	.loc	2 170 27                        ; standard.py:170:27 @[ standard.py:191:40 @[ jsd_aot.py:63:40 ] ]
	v_max_f32_e32 v34, v34, v34
	v_max_f32_e32 v29, v29, v34
.Ltmp14:
	.loc	2 191 40                        ; standard.py:191:40 @[ jsd_aot.py:63:40 ]
	s_nop 1
	v_mov_b32_dpp v34, v29 row_shr:2 row_mask:0xf bank_mask:0xf bound_ctrl:1
.Ltmp15:
	.loc	2 170 27                        ; standard.py:170:27 @[ standard.py:191:40 @[ jsd_aot.py:63:40 ] ]
	v_max_f32_e32 v34, v34, v34
	v_max_f32_e32 v29, v29, v34
.Ltmp16:
	.loc	2 191 40                        ; standard.py:191:40 @[ jsd_aot.py:63:40 ]
	s_nop 1
	v_mov_b32_dpp v34, v29 row_shr:1 row_mask:0xf bank_mask:0xf bound_ctrl:1
.Ltmp17:
	.loc	2 170 27                        ; standard.py:170:27 @[ standard.py:191:40 @[ jsd_aot.py:63:40 ] ]
	v_max_f32_e32 v34, v34, v34
	v_max_f32_e32 v29, v29, v34
.Ltmp18:
	.loc	2 191 40                        ; standard.py:191:40 @[ jsd_aot.py:63:40 ]
	v_mov_b32_e32 v34, v29
	s_nop 1
	v_mov_b32_dpp v34, v34 row_bcast:15 row_mask:0xa bank_mask:0xf bound_ctrl:1
.Ltmp19:
	.loc	2 170 27                        ; standard.py:170:27 @[ standard.py:191:40 @[ jsd_aot.py:63:40 ] ]
	v_max_f32_e32 v34, v34, v34
	v_max_f32_e32 v29, v29, v34
.Ltmp20:
	.loc	2 191 40                        ; standard.py:191:40 @[ jsd_aot.py:63:40 ]
	s_nop 1
	v_mov_b32_dpp v34, v29 row_bcast:31 row_mask:0xf bank_mask:0xf bound_ctrl:1
.Ltmp21:
	.loc	2 170 27                        ; standard.py:170:27 @[ standard.py:191:40 @[ jsd_aot.py:63:40 ] ]
	v_max_f32_e32 v34, v34, v34
	v_max_f32_e32 v29, v29, v34
.Ltmp22:
	.loc	2 191 40                        ; standard.py:191:40 @[ jsd_aot.py:63:40 ]
	s_nop 0
	v_readlane_b32 s26, v29, 63
	s_and_saveexec_b64 s[6:7], vcc
; %bb.3:                                ;   in Loop: Header=BB0_2 Depth=1
	v_mov_b32_e32 v29, s18
	v_mov_b32_e32 v34, s26
	ds_write_b32 v29, v34
.Ltmp23:
; %bb.4:                                ;   in Loop: Header=BB0_2 Depth=1
	.loc	2 0 40 is_stmt 0                ; standard.py:0:40
	s_or_b64 exec, exec, s[6:7]
	.loc	1 63 40 is_stmt 1               ; jsd_aot.py:63:40
	v_mov_b32_e32 v29, 0
.Ltmp24:
	.loc	2 191 40                        ; standard.py:191:40 @[ jsd_aot.py:63:40 ]
	s_waitcnt lgkmcnt(0)
	s_barrier
	s_and_saveexec_b64 s[6:7], s[0:1]
; %bb.5:                                ;   in Loop: Header=BB0_2 Depth=1
	ds_read_b32 v29, v2
; %bb.6:                                ;   in Loop: Header=BB0_2 Depth=1
	.loc	2 0 40 is_stmt 0                ; standard.py:0:40
	s_or_b64 exec, exec, s[6:7]
	.loc	2 191 40                        ; standard.py:191:40 @[ jsd_aot.py:63:40 ]
	s_waitcnt lgkmcnt(0)
	v_mov_b32_e32 v34, v29
	s_nop 1
	v_mov_b32_dpp v34, v34 row_shr:4 row_mask:0xf bank_mask:0xa
	s_nop 1
	v_mov_b32_dpp v34, v29 row_shl:4 row_mask:0xf bank_mask:0x5
.Ltmp25:
	.loc	2 170 27 is_stmt 1              ; standard.py:170:27 @[ standard.py:191:40 @[ jsd_aot.py:63:40 ] ]
	v_max_f32_e32 v34, v34, v34
	v_max_f32_e32 v29, v29, v29
	;; [unrolled: 1-line block ×3, first 2 shown]
.Ltmp26:
	.loc	2 191 40                        ; standard.py:191:40 @[ jsd_aot.py:63:40 ]
	v_mov_b32_e32 v34, v29
	s_nop 1
	v_mov_b32_dpp v34, v34 quad_perm:[2,3,0,1] row_mask:0xf bank_mask:0xf
.Ltmp27:
	.loc	2 170 27                        ; standard.py:170:27 @[ standard.py:191:40 @[ jsd_aot.py:63:40 ] ]
	v_max_f32_e32 v34, v34, v34
	v_max_f32_e32 v29, v29, v34
.Ltmp28:
	.loc	2 191 40                        ; standard.py:191:40 @[ jsd_aot.py:63:40 ]
	v_mov_b32_e32 v34, v29
	s_nop 1
	v_mov_b32_dpp v34, v34 quad_perm:[1,0,3,2] row_mask:0xf bank_mask:0xf
	s_and_saveexec_b64 s[6:7], s[16:17]
; %bb.7:                                ;   in Loop: Header=BB0_2 Depth=1
	.loc	2 0 40 is_stmt 0                ; standard.py:0:40
	v_max_f32_e32 v34, v34, v34
	v_max_f32_e32 v29, v29, v29
	;; [unrolled: 1-line block ×3, first 2 shown]
	.loc	2 191 40                        ; standard.py:191:40 @[ jsd_aot.py:63:40 ]
	ds_write_b32 v2, v29
.Ltmp29:
; %bb.8:                                ;   in Loop: Header=BB0_2 Depth=1
	.loc	2 0 40                          ; standard.py:0:40
	s_or_b64 exec, exec, s[6:7]
.Ltmp30:
	.loc	2 170 27 is_stmt 1              ; standard.py:170:27 @[ standard.py:191:40 @[ jsd_aot.py:63:59 ] ]
	s_waitcnt vmcnt(5)
	v_max_f32_e32 v34, v31, v31
	v_max_f32_e32 v35, v32, v32
	;; [unrolled: 1-line block ×3, first 2 shown]
	s_waitcnt vmcnt(3)
	v_max3_f32 v34, v34, v30, v28
.Ltmp31:
	.loc	1 48 20                         ; jsd_aot.py:48:20
	s_waitcnt vmcnt(1)
	v_cndmask_b32_e64 v29, v5, v27, s[2:3]
	s_waitcnt vmcnt(0)
	v_cndmask_b32_e64 v27, v5, v33, s[4:5]
.Ltmp32:
	.loc	2 170 27                        ; standard.py:170:27 @[ standard.py:191:40 @[ jsd_aot.py:63:59 ] ]
	v_max3_f32 v34, v34, v26, v25
	v_max3_f32 v34, v34, v29, v27
.Ltmp33:
	.loc	2 191 40                        ; standard.py:191:40 @[ jsd_aot.py:63:40 ]
	s_waitcnt lgkmcnt(0)
	s_barrier
.Ltmp34:
	.loc	2 191 40 is_stmt 0              ; standard.py:191:40 @[ jsd_aot.py:63:59 ]
	v_mov_b32_dpp v35, v34 row_shr:8 row_mask:0xf bank_mask:0xf bound_ctrl:1
.Ltmp35:
	.loc	2 170 27 is_stmt 1              ; standard.py:170:27 @[ standard.py:191:40 @[ jsd_aot.py:63:59 ] ]
	v_max_f32_e32 v35, v35, v35
	v_max_f32_e32 v34, v34, v35
.Ltmp36:
	.loc	2 191 40                        ; standard.py:191:40 @[ jsd_aot.py:63:40 ]
	ds_read_b32 v33, v6
.Ltmp37:
	.loc	2 191 40 is_stmt 0              ; standard.py:191:40 @[ jsd_aot.py:63:59 ]
	s_waitcnt lgkmcnt(0)
	v_mov_b32_dpp v35, v34 row_shr:4 row_mask:0xf bank_mask:0xf bound_ctrl:1
.Ltmp38:
	.loc	2 170 27 is_stmt 1              ; standard.py:170:27 @[ standard.py:191:40 @[ jsd_aot.py:63:59 ] ]
	v_max_f32_e32 v35, v35, v35
	v_max_f32_e32 v34, v34, v35
.Ltmp39:
	.loc	2 191 40                        ; standard.py:191:40 @[ jsd_aot.py:63:59 ]
	s_barrier
	s_nop 0
	v_mov_b32_dpp v35, v34 row_shr:2 row_mask:0xf bank_mask:0xf bound_ctrl:1
.Ltmp40:
	.loc	2 170 27                        ; standard.py:170:27 @[ standard.py:191:40 @[ jsd_aot.py:63:59 ] ]
	v_max_f32_e32 v35, v35, v35
	v_max_f32_e32 v34, v34, v35
.Ltmp41:
	.loc	2 191 40                        ; standard.py:191:40 @[ jsd_aot.py:63:59 ]
	s_nop 1
	v_mov_b32_dpp v35, v34 row_shr:1 row_mask:0xf bank_mask:0xf bound_ctrl:1
.Ltmp42:
	.loc	2 170 27                        ; standard.py:170:27 @[ standard.py:191:40 @[ jsd_aot.py:63:59 ] ]
	v_max_f32_e32 v35, v35, v35
	v_max_f32_e32 v34, v34, v35
.Ltmp43:
	.loc	2 191 40                        ; standard.py:191:40 @[ jsd_aot.py:63:59 ]
	v_mov_b32_e32 v35, v34
	s_nop 1
	v_mov_b32_dpp v35, v35 row_bcast:15 row_mask:0xa bank_mask:0xf bound_ctrl:1
.Ltmp44:
	.loc	2 170 27                        ; standard.py:170:27 @[ standard.py:191:40 @[ jsd_aot.py:63:59 ] ]
	v_max_f32_e32 v35, v35, v35
	v_max_f32_e32 v34, v34, v35
.Ltmp45:
	.loc	2 191 40                        ; standard.py:191:40 @[ jsd_aot.py:63:59 ]
	s_nop 1
	v_mov_b32_dpp v35, v34 row_bcast:31 row_mask:0xf bank_mask:0xf bound_ctrl:1
.Ltmp46:
	.loc	2 170 27                        ; standard.py:170:27 @[ standard.py:191:40 @[ jsd_aot.py:63:59 ] ]
	v_max_f32_e32 v35, v35, v35
	v_max_f32_e32 v34, v34, v35
.Ltmp47:
	.loc	2 191 40                        ; standard.py:191:40 @[ jsd_aot.py:63:59 ]
	s_nop 0
	v_readlane_b32 s4, v34, 63
	s_and_saveexec_b64 s[2:3], vcc
; %bb.9:                                ;   in Loop: Header=BB0_2 Depth=1
	v_mov_b32_e32 v34, s18
	v_mov_b32_e32 v35, s4
	ds_write_b32 v34, v35
.Ltmp48:
; %bb.10:                               ;   in Loop: Header=BB0_2 Depth=1
	.loc	2 0 40 is_stmt 0                ; standard.py:0:40
	s_or_b64 exec, exec, s[2:3]
	.loc	1 63 59 is_stmt 1               ; jsd_aot.py:63:59
	v_mov_b32_e32 v34, 0
.Ltmp49:
	.loc	2 191 40                        ; standard.py:191:40 @[ jsd_aot.py:63:59 ]
	s_waitcnt lgkmcnt(0)
	s_barrier
	s_and_saveexec_b64 s[2:3], s[0:1]
; %bb.11:                               ;   in Loop: Header=BB0_2 Depth=1
	ds_read_b32 v34, v2
; %bb.12:                               ;   in Loop: Header=BB0_2 Depth=1
	.loc	2 0 40 is_stmt 0                ; standard.py:0:40
	s_or_b64 exec, exec, s[2:3]
	.loc	2 191 40                        ; standard.py:191:40 @[ jsd_aot.py:63:59 ]
	s_waitcnt lgkmcnt(0)
	v_mov_b32_e32 v35, v34
	s_nop 1
	v_mov_b32_dpp v35, v35 row_shr:4 row_mask:0xf bank_mask:0xa
	s_nop 1
	v_mov_b32_dpp v35, v34 row_shl:4 row_mask:0xf bank_mask:0x5
.Ltmp50:
	.loc	2 170 27 is_stmt 1              ; standard.py:170:27 @[ standard.py:191:40 @[ jsd_aot.py:63:59 ] ]
	v_max_f32_e32 v35, v35, v35
	v_max_f32_e32 v34, v34, v34
	;; [unrolled: 1-line block ×3, first 2 shown]
.Ltmp51:
	.loc	2 191 40                        ; standard.py:191:40 @[ jsd_aot.py:63:59 ]
	v_mov_b32_e32 v35, v34
	s_nop 1
	v_mov_b32_dpp v35, v35 quad_perm:[2,3,0,1] row_mask:0xf bank_mask:0xf
.Ltmp52:
	.loc	2 170 27                        ; standard.py:170:27 @[ standard.py:191:40 @[ jsd_aot.py:63:59 ] ]
	v_max_f32_e32 v35, v35, v35
	v_max_f32_e32 v34, v34, v35
.Ltmp53:
	.loc	2 191 40                        ; standard.py:191:40 @[ jsd_aot.py:63:59 ]
	v_mov_b32_e32 v35, v34
	s_nop 1
	v_mov_b32_dpp v35, v35 quad_perm:[1,0,3,2] row_mask:0xf bank_mask:0xf
	s_and_saveexec_b64 s[2:3], s[16:17]
	s_cbranch_execz .LBB0_1
; %bb.13:                               ;   in Loop: Header=BB0_2 Depth=1
	.loc	2 0 40 is_stmt 0                ; standard.py:0:40
	v_max_f32_e32 v35, v35, v35
	v_max_f32_e32 v34, v34, v34
	;; [unrolled: 1-line block ×3, first 2 shown]
	.loc	2 191 40                        ; standard.py:191:40 @[ jsd_aot.py:63:59 ]
	ds_write_b32 v2, v34
	s_branch .LBB0_1
.Ltmp54:
.LBB0_14:
	.loc	1 44 4 is_stmt 1                ; jsd_aot.py:44:4
	s_endpgm
.Ltmp55:
	.section	.rodata,"a",@progbits
	.p2align	6, 0x0
	.amdhsa_kernel _jsd_kernel
		.amdhsa_group_segment_fixed_size 0
		.amdhsa_private_segment_fixed_size 0
		.amdhsa_kernarg_size 96
		.amdhsa_user_sgpr_count 16
		.amdhsa_user_sgpr_dispatch_ptr 0
		.amdhsa_user_sgpr_queue_ptr 0
		.amdhsa_user_sgpr_kernarg_segment_ptr 1
		.amdhsa_user_sgpr_dispatch_id 0
		.amdhsa_user_sgpr_kernarg_preload_length 14
		.amdhsa_user_sgpr_kernarg_preload_offset 0
		.amdhsa_user_sgpr_private_segment_size 0
		.amdhsa_uses_dynamic_stack 0
		.amdhsa_enable_private_segment 0
		.amdhsa_system_sgpr_workgroup_id_x 1
		.amdhsa_system_sgpr_workgroup_id_y 0
		.amdhsa_system_sgpr_workgroup_id_z 0
		.amdhsa_system_sgpr_workgroup_info 0
		.amdhsa_system_vgpr_workitem_id 0
		.amdhsa_next_free_vgpr 60
		.amdhsa_next_free_sgpr 34
		.amdhsa_accum_offset 60
		.amdhsa_reserve_vcc 1
		.amdhsa_reserve_xnack_mask 1
		.amdhsa_float_round_mode_32 0
		.amdhsa_float_round_mode_16_64 0
		.amdhsa_float_denorm_mode_32 3
		.amdhsa_float_denorm_mode_16_64 3
		.amdhsa_dx10_clamp 1
		.amdhsa_ieee_mode 1
		.amdhsa_fp16_overflow 0
		.amdhsa_tg_split 0
		.amdhsa_exception_fp_ieee_invalid_op 0
		.amdhsa_exception_fp_denorm_src 0
		.amdhsa_exception_fp_ieee_div_zero 0
		.amdhsa_exception_fp_ieee_overflow 0
		.amdhsa_exception_fp_ieee_underflow 0
		.amdhsa_exception_fp_ieee_inexact 0
		.amdhsa_exception_int_div_zero 0
	.end_amdhsa_kernel
	.text
.Lfunc_end0:
	.size	_jsd_kernel, .Lfunc_end0-_jsd_kernel
	.cfi_endproc
                                        ; -- End function
	.set _jsd_kernel.num_vgpr, 60
	.set _jsd_kernel.num_agpr, 0
	.set _jsd_kernel.numbered_sgpr, 34
	.set _jsd_kernel.num_named_barrier, 0
	.set _jsd_kernel.private_seg_size, 0
	.set _jsd_kernel.uses_vcc, 1
	.set _jsd_kernel.uses_flat_scratch, 0
	.set _jsd_kernel.has_dyn_sized_stack, 0
	.set _jsd_kernel.has_recursion, 0
	.set _jsd_kernel.has_indirect_call, 0
	.section	.AMDGPU.csdata,"",@progbits
; Kernel info:
; codeLenInByte = 3972
; TotalNumSgprs: 40
; NumVgprs: 60
; NumAgprs: 0
; TotalNumVgprs: 60
; ScratchSize: 0
; MemoryBound: 0
; FloatMode: 240
; IeeeMode: 1
; LDSByteSize: 0 bytes/workgroup (compile time only)
; SGPRBlocks: 4
; VGPRBlocks: 7
; NumSGPRsForWavesPerEU: 40
; NumVGPRsForWavesPerEU: 60
; AccumOffset: 60
; Occupancy: 8
; WaveLimiterHint : 0
; COMPUTE_PGM_RSRC2:SCRATCH_EN: 0
; COMPUTE_PGM_RSRC2:USER_SGPR: 16
; COMPUTE_PGM_RSRC2:TRAP_HANDLER: 0
; COMPUTE_PGM_RSRC2:TGID_X_EN: 1
; COMPUTE_PGM_RSRC2:TGID_Y_EN: 0
; COMPUTE_PGM_RSRC2:TGID_Z_EN: 0
; COMPUTE_PGM_RSRC2:TIDIG_COMP_CNT: 0
; COMPUTE_PGM_RSRC3_GFX90A:ACCUM_OFFSET: 14
; COMPUTE_PGM_RSRC3_GFX90A:TG_SPLIT: 0
	.text
	.p2alignl 6, 3212836864
	.fill 256, 4, 3212836864
	.section	.AMDGPU.gpr_maximums,"",@progbits
	.set amdgpu.max_num_vgpr, 0
	.set amdgpu.max_num_agpr, 0
	.set amdgpu.max_num_sgpr, 0
	.set amdgpu.max_num_named_barrier, 0
	.text
	.section	.debug_abbrev,"",@progbits
	.byte	1                               ; Abbreviation Code
	.byte	17                              ; DW_TAG_compile_unit
	.byte	1                               ; DW_CHILDREN_yes
	.byte	37                              ; DW_AT_producer
	.byte	14                              ; DW_FORM_strp
	.byte	19                              ; DW_AT_language
	.byte	5                               ; DW_FORM_data2
	.byte	3                               ; DW_AT_name
	.byte	14                              ; DW_FORM_strp
	.byte	16                              ; DW_AT_stmt_list
	.byte	23                              ; DW_FORM_sec_offset
	.byte	27                              ; DW_AT_comp_dir
	.byte	14                              ; DW_FORM_strp
	.byte	17                              ; DW_AT_low_pc
	.byte	1                               ; DW_FORM_addr
	.byte	18                              ; DW_AT_high_pc
	.byte	6                               ; DW_FORM_data4
	.byte	0                               ; EOM(1)
	.byte	0                               ; EOM(2)
	.byte	2                               ; Abbreviation Code
	.byte	46                              ; DW_TAG_subprogram
	.byte	0                               ; DW_CHILDREN_no
	.byte	3                               ; DW_AT_name
	.byte	14                              ; DW_FORM_strp
	.byte	32                              ; DW_AT_inline
	.byte	11                              ; DW_FORM_data1
	.byte	0                               ; EOM(1)
	.byte	0                               ; EOM(2)
	.byte	3                               ; Abbreviation Code
	.byte	46                              ; DW_TAG_subprogram
	.byte	1                               ; DW_CHILDREN_yes
	.byte	17                              ; DW_AT_low_pc
	.byte	1                               ; DW_FORM_addr
	.byte	18                              ; DW_AT_high_pc
	.byte	6                               ; DW_FORM_data4
	.byte	49                              ; DW_AT_abstract_origin
	.byte	19                              ; DW_FORM_ref4
	.byte	0                               ; EOM(1)
	.byte	0                               ; EOM(2)
	.byte	4                               ; Abbreviation Code
	.byte	29                              ; DW_TAG_inlined_subroutine
	.byte	1                               ; DW_CHILDREN_yes
	.byte	49                              ; DW_AT_abstract_origin
	.byte	19                              ; DW_FORM_ref4
	.byte	85                              ; DW_AT_ranges
	.byte	23                              ; DW_FORM_sec_offset
	.byte	88                              ; DW_AT_call_file
	.byte	11                              ; DW_FORM_data1
	.byte	89                              ; DW_AT_call_line
	.byte	11                              ; DW_FORM_data1
	.byte	87                              ; DW_AT_call_column
	.byte	11                              ; DW_FORM_data1
	.byte	0                               ; EOM(1)
	.byte	0                               ; EOM(2)
	.byte	5                               ; Abbreviation Code
	.byte	29                              ; DW_TAG_inlined_subroutine
	.byte	0                               ; DW_CHILDREN_no
	.byte	49                              ; DW_AT_abstract_origin
	.byte	19                              ; DW_FORM_ref4
	.byte	85                              ; DW_AT_ranges
	.byte	23                              ; DW_FORM_sec_offset
	.byte	88                              ; DW_AT_call_file
	.byte	11                              ; DW_FORM_data1
	.byte	89                              ; DW_AT_call_line
	.byte	11                              ; DW_FORM_data1
	.byte	87                              ; DW_AT_call_column
	.byte	11                              ; DW_FORM_data1
	.byte	0                               ; EOM(1)
	.byte	0                               ; EOM(2)
	;; [unrolled: 1-line block ×3, first 2 shown]
	.section	.debug_info,"",@progbits
.Lcu_begin0:
	.long	.Ldebug_info_end0-.Ldebug_info_start0 ; Length of Unit
.Ldebug_info_start0:
	.short	4                               ; DWARF version number
	.long	.debug_abbrev                   ; Offset Into Abbrev. Section
	.byte	8                               ; Address Size (in bytes)
	.byte	1                               ; Abbrev [1] 0xb:0x6a DW_TAG_compile_unit
	.long	.Linfo_string0                  ; DW_AT_producer
	.short	2                               ; DW_AT_language
	.long	.Linfo_string1                  ; DW_AT_name
	.long	.Lline_table_start0             ; DW_AT_stmt_list
	.long	.Linfo_string2                  ; DW_AT_comp_dir
	.quad	.Lfunc_begin0                   ; DW_AT_low_pc
	.long	.Lfunc_end0-.Lfunc_begin0       ; DW_AT_high_pc
	.byte	2                               ; Abbrev [2] 0x2a:0x6 DW_TAG_subprogram
	.long	.Linfo_string3                  ; DW_AT_name
	.byte	1                               ; DW_AT_inline
	.byte	3                               ; Abbrev [3] 0x30:0x44 DW_TAG_subprogram
	.quad	.Lfunc_begin0                   ; DW_AT_low_pc
	.long	.Lfunc_end0-.Lfunc_begin0       ; DW_AT_high_pc
	.long	42                              ; DW_AT_abstract_origin
	.byte	4                               ; Abbrev [4] 0x41:0x19 DW_TAG_inlined_subroutine
	.long	42                              ; DW_AT_abstract_origin
	.long	.Ldebug_ranges0                 ; DW_AT_ranges
	.byte	1                               ; DW_AT_call_file
	.byte	63                              ; DW_AT_call_line
	.byte	59                              ; DW_AT_call_column
	.byte	5                               ; Abbrev [5] 0x4d:0xc DW_TAG_inlined_subroutine
	.long	42                              ; DW_AT_abstract_origin
	.long	.Ldebug_ranges1                 ; DW_AT_ranges
	.byte	2                               ; DW_AT_call_file
	.byte	191                             ; DW_AT_call_line
	.byte	40                              ; DW_AT_call_column
	.byte	0                               ; End Of Children Mark
	.byte	4                               ; Abbrev [4] 0x5a:0x19 DW_TAG_inlined_subroutine
	.long	42                              ; DW_AT_abstract_origin
	.long	.Ldebug_ranges2                 ; DW_AT_ranges
	.byte	1                               ; DW_AT_call_file
	.byte	63                              ; DW_AT_call_line
	.byte	40                              ; DW_AT_call_column
	.byte	5                               ; Abbrev [5] 0x66:0xc DW_TAG_inlined_subroutine
	.long	42                              ; DW_AT_abstract_origin
	.long	.Ldebug_ranges3                 ; DW_AT_ranges
	.byte	2                               ; DW_AT_call_file
	.byte	191                             ; DW_AT_call_line
	.byte	40                              ; DW_AT_call_column
	.byte	0                               ; End Of Children Mark
	.byte	0                               ; End Of Children Mark
	;; [unrolled: 1-line block ×3, first 2 shown]
.Ldebug_info_end0:
	.section	.debug_ranges,"",@progbits
.Ldebug_ranges0:
	.quad	.Ltmp2-.Lfunc_begin0
	.quad	.Ltmp3-.Lfunc_begin0
	;; [unrolled: 1-line block ×14, first 2 shown]
	.quad	0
	.quad	0
.Ldebug_ranges1:
	.quad	.Ltmp30-.Lfunc_begin0
	.quad	.Ltmp31-.Lfunc_begin0
	;; [unrolled: 1-line block ×20, first 2 shown]
	.quad	0
	.quad	0
.Ldebug_ranges2:
	.quad	.Ltmp6-.Lfunc_begin0
	.quad	.Ltmp8-.Lfunc_begin0
	;; [unrolled: 1-line block ×10, first 2 shown]
	.quad	0
	.quad	0
.Ldebug_ranges3:
	.quad	.Ltmp7-.Lfunc_begin0
	.quad	.Ltmp8-.Lfunc_begin0
	;; [unrolled: 1-line block ×20, first 2 shown]
	.quad	0
	.quad	0
	.section	.debug_str,"MS",@progbits,1
.Linfo_string0:
	.asciz	"triton"                        ; string offset=0
.Linfo_string1:
	.asciz	"jsd_aot.py"                    ; string offset=7
.Linfo_string2:
	.asciz	"/root/src/amdgpu-assembly/repos/linkedin__Liger-Kernel/triton_aot_kernels" ; string offset=18
.Linfo_string3:
	.asciz	"_jsd_kernel"                   ; string offset=92
	.section	".note.GNU-stack","",@progbits
	.amdgpu_metadata
---
amdhsa.kernels:
  - .agpr_count:     0
    .args:
      - .address_space:  global
        .offset:         0
        .size:           8
        .value_kind:     global_buffer
      - .offset:         8
        .size:           4
        .value_kind:     by_value
      - .address_space:  global
        .offset:         16
        .size:           8
        .value_kind:     global_buffer
      - .offset:         24
        .size:           4
        .value_kind:     by_value
      - .address_space:  global
        .offset:         32
        .size:           8
        .value_kind:     global_buffer
      - .offset:         40
        .size:           4
        .value_kind:     by_value
      - .address_space:  global
        .offset:         48
        .size:           8
        .value_kind:     global_buffer
      - .offset:         56
        .size:           4
        .value_kind:     by_value
      - .address_space:  global
        .offset:         64
        .size:           8
        .value_kind:     global_buffer
      - .offset:         72
        .size:           4
        .value_kind:     by_value
      - .address_space:  global
        .offset:         80
        .size:           8
        .value_kind:     global_buffer
      - .address_space:  global
        .offset:         88
        .size:           8
        .value_kind:     global_buffer
    .group_segment_fixed_size: 0
    .kernarg_segment_align: 8
    .kernarg_segment_size: 96
    .max_flat_workgroup_size: 512
    .name:           _jsd_kernel
    .private_segment_fixed_size: 0
    .sgpr_count:     40
    .sgpr_spill_count: 0
    .symbol:         _jsd_kernel.kd
    .uniform_work_group_size: 1
    .uses_dynamic_stack: false
    .vgpr_count:     60
    .vgpr_spill_count: 0
    .wavefront_size: 64
amdhsa.target:   amdgcn-amd-amdhsa--gfx950
amdhsa.version:
  - 1
  - 2
...

	.end_amdgpu_metadata
	.section	.debug_line,"",@progbits
.Lline_table_start0:
